;; amdgpu-corpus repo=ROCm/rocFFT kind=compiled arch=gfx1201 opt=O3
	.text
	.amdgcn_target "amdgcn-amd-amdhsa--gfx1201"
	.amdhsa_code_object_version 6
	.protected	fft_rtc_back_len1386_factors_2_7_3_11_3_wgs_231_tpt_231_halfLds_half_ip_CI_unitstride_sbrr_C2R_dirReg ; -- Begin function fft_rtc_back_len1386_factors_2_7_3_11_3_wgs_231_tpt_231_halfLds_half_ip_CI_unitstride_sbrr_C2R_dirReg
	.globl	fft_rtc_back_len1386_factors_2_7_3_11_3_wgs_231_tpt_231_halfLds_half_ip_CI_unitstride_sbrr_C2R_dirReg
	.p2align	8
	.type	fft_rtc_back_len1386_factors_2_7_3_11_3_wgs_231_tpt_231_halfLds_half_ip_CI_unitstride_sbrr_C2R_dirReg,@function
fft_rtc_back_len1386_factors_2_7_3_11_3_wgs_231_tpt_231_halfLds_half_ip_CI_unitstride_sbrr_C2R_dirReg: ; @fft_rtc_back_len1386_factors_2_7_3_11_3_wgs_231_tpt_231_halfLds_half_ip_CI_unitstride_sbrr_C2R_dirReg
; %bb.0:
	s_clause 0x2
	s_load_b128 s[4:7], s[0:1], 0x0
	s_load_b64 s[8:9], s[0:1], 0x50
	s_load_b64 s[10:11], s[0:1], 0x18
	v_mul_u32_u24_e32 v1, 0x11c, v0
	v_mov_b32_e32 v3, 0
	s_delay_alu instid0(VALU_DEP_2) | instskip(NEXT) | instid1(VALU_DEP_1)
	v_lshrrev_b32_e32 v1, 16, v1
	v_add_nc_u32_e32 v5, ttmp9, v1
	v_mov_b32_e32 v1, 0
	v_mov_b32_e32 v2, 0
	;; [unrolled: 1-line block ×3, first 2 shown]
	s_wait_kmcnt 0x0
	v_cmp_lt_u64_e64 s2, s[6:7], 2
	s_delay_alu instid0(VALU_DEP_1)
	s_and_b32 vcc_lo, exec_lo, s2
	s_cbranch_vccnz .LBB0_8
; %bb.1:
	s_load_b64 s[2:3], s[0:1], 0x10
	v_mov_b32_e32 v1, 0
	v_mov_b32_e32 v2, 0
	s_add_nc_u64 s[12:13], s[10:11], 8
	s_mov_b64 s[14:15], 1
	s_wait_kmcnt 0x0
	s_add_nc_u64 s[16:17], s[2:3], 8
	s_mov_b32 s3, 0
.LBB0_2:                                ; =>This Inner Loop Header: Depth=1
	s_load_b64 s[18:19], s[16:17], 0x0
                                        ; implicit-def: $vgpr7_vgpr8
	s_mov_b32 s2, exec_lo
	s_wait_kmcnt 0x0
	v_or_b32_e32 v4, s19, v6
	s_delay_alu instid0(VALU_DEP_1)
	v_cmpx_ne_u64_e32 0, v[3:4]
	s_wait_alu 0xfffe
	s_xor_b32 s20, exec_lo, s2
	s_cbranch_execz .LBB0_4
; %bb.3:                                ;   in Loop: Header=BB0_2 Depth=1
	s_cvt_f32_u32 s2, s18
	s_cvt_f32_u32 s21, s19
	s_sub_nc_u64 s[24:25], 0, s[18:19]
	s_wait_alu 0xfffe
	s_delay_alu instid0(SALU_CYCLE_1) | instskip(SKIP_1) | instid1(SALU_CYCLE_2)
	s_fmamk_f32 s2, s21, 0x4f800000, s2
	s_wait_alu 0xfffe
	v_s_rcp_f32 s2, s2
	s_delay_alu instid0(TRANS32_DEP_1) | instskip(SKIP_1) | instid1(SALU_CYCLE_2)
	s_mul_f32 s2, s2, 0x5f7ffffc
	s_wait_alu 0xfffe
	s_mul_f32 s21, s2, 0x2f800000
	s_wait_alu 0xfffe
	s_delay_alu instid0(SALU_CYCLE_2) | instskip(SKIP_1) | instid1(SALU_CYCLE_2)
	s_trunc_f32 s21, s21
	s_wait_alu 0xfffe
	s_fmamk_f32 s2, s21, 0xcf800000, s2
	s_cvt_u32_f32 s23, s21
	s_wait_alu 0xfffe
	s_delay_alu instid0(SALU_CYCLE_1) | instskip(SKIP_1) | instid1(SALU_CYCLE_2)
	s_cvt_u32_f32 s22, s2
	s_wait_alu 0xfffe
	s_mul_u64 s[26:27], s[24:25], s[22:23]
	s_wait_alu 0xfffe
	s_mul_hi_u32 s29, s22, s27
	s_mul_i32 s28, s22, s27
	s_mul_hi_u32 s2, s22, s26
	s_mul_i32 s30, s23, s26
	s_wait_alu 0xfffe
	s_add_nc_u64 s[28:29], s[2:3], s[28:29]
	s_mul_hi_u32 s21, s23, s26
	s_mul_hi_u32 s31, s23, s27
	s_add_co_u32 s2, s28, s30
	s_wait_alu 0xfffe
	s_add_co_ci_u32 s2, s29, s21
	s_mul_i32 s26, s23, s27
	s_add_co_ci_u32 s27, s31, 0
	s_wait_alu 0xfffe
	s_add_nc_u64 s[26:27], s[2:3], s[26:27]
	s_wait_alu 0xfffe
	v_add_co_u32 v4, s2, s22, s26
	s_delay_alu instid0(VALU_DEP_1) | instskip(SKIP_1) | instid1(VALU_DEP_1)
	s_cmp_lg_u32 s2, 0
	s_add_co_ci_u32 s23, s23, s27
	v_readfirstlane_b32 s22, v4
	s_wait_alu 0xfffe
	s_delay_alu instid0(VALU_DEP_1)
	s_mul_u64 s[24:25], s[24:25], s[22:23]
	s_wait_alu 0xfffe
	s_mul_hi_u32 s27, s22, s25
	s_mul_i32 s26, s22, s25
	s_mul_hi_u32 s2, s22, s24
	s_mul_i32 s28, s23, s24
	s_wait_alu 0xfffe
	s_add_nc_u64 s[26:27], s[2:3], s[26:27]
	s_mul_hi_u32 s21, s23, s24
	s_mul_hi_u32 s22, s23, s25
	s_wait_alu 0xfffe
	s_add_co_u32 s2, s26, s28
	s_add_co_ci_u32 s2, s27, s21
	s_mul_i32 s24, s23, s25
	s_add_co_ci_u32 s25, s22, 0
	s_wait_alu 0xfffe
	s_add_nc_u64 s[24:25], s[2:3], s[24:25]
	s_wait_alu 0xfffe
	v_add_co_u32 v4, s2, v4, s24
	s_delay_alu instid0(VALU_DEP_1) | instskip(SKIP_1) | instid1(VALU_DEP_1)
	s_cmp_lg_u32 s2, 0
	s_add_co_ci_u32 s2, s23, s25
	v_mul_hi_u32 v13, v5, v4
	s_wait_alu 0xfffe
	v_mad_co_u64_u32 v[7:8], null, v5, s2, 0
	v_mad_co_u64_u32 v[9:10], null, v6, v4, 0
	;; [unrolled: 1-line block ×3, first 2 shown]
	s_delay_alu instid0(VALU_DEP_3) | instskip(SKIP_1) | instid1(VALU_DEP_4)
	v_add_co_u32 v4, vcc_lo, v13, v7
	s_wait_alu 0xfffd
	v_add_co_ci_u32_e32 v7, vcc_lo, 0, v8, vcc_lo
	s_delay_alu instid0(VALU_DEP_2) | instskip(SKIP_1) | instid1(VALU_DEP_2)
	v_add_co_u32 v4, vcc_lo, v4, v9
	s_wait_alu 0xfffd
	v_add_co_ci_u32_e32 v4, vcc_lo, v7, v10, vcc_lo
	s_wait_alu 0xfffd
	v_add_co_ci_u32_e32 v7, vcc_lo, 0, v12, vcc_lo
	s_delay_alu instid0(VALU_DEP_2) | instskip(SKIP_1) | instid1(VALU_DEP_2)
	v_add_co_u32 v4, vcc_lo, v4, v11
	s_wait_alu 0xfffd
	v_add_co_ci_u32_e32 v9, vcc_lo, 0, v7, vcc_lo
	s_delay_alu instid0(VALU_DEP_2) | instskip(SKIP_1) | instid1(VALU_DEP_3)
	v_mul_lo_u32 v10, s19, v4
	v_mad_co_u64_u32 v[7:8], null, s18, v4, 0
	v_mul_lo_u32 v11, s18, v9
	s_delay_alu instid0(VALU_DEP_2) | instskip(NEXT) | instid1(VALU_DEP_2)
	v_sub_co_u32 v7, vcc_lo, v5, v7
	v_add3_u32 v8, v8, v11, v10
	s_delay_alu instid0(VALU_DEP_1) | instskip(SKIP_1) | instid1(VALU_DEP_1)
	v_sub_nc_u32_e32 v10, v6, v8
	s_wait_alu 0xfffd
	v_subrev_co_ci_u32_e64 v10, s2, s19, v10, vcc_lo
	v_add_co_u32 v11, s2, v4, 2
	s_wait_alu 0xf1ff
	v_add_co_ci_u32_e64 v12, s2, 0, v9, s2
	v_sub_co_u32 v13, s2, v7, s18
	v_sub_co_ci_u32_e32 v8, vcc_lo, v6, v8, vcc_lo
	s_wait_alu 0xf1ff
	v_subrev_co_ci_u32_e64 v10, s2, 0, v10, s2
	s_delay_alu instid0(VALU_DEP_3) | instskip(NEXT) | instid1(VALU_DEP_3)
	v_cmp_le_u32_e32 vcc_lo, s18, v13
	v_cmp_eq_u32_e64 s2, s19, v8
	s_wait_alu 0xfffd
	v_cndmask_b32_e64 v13, 0, -1, vcc_lo
	v_cmp_le_u32_e32 vcc_lo, s19, v10
	s_wait_alu 0xfffd
	v_cndmask_b32_e64 v14, 0, -1, vcc_lo
	v_cmp_le_u32_e32 vcc_lo, s18, v7
	;; [unrolled: 3-line block ×3, first 2 shown]
	s_wait_alu 0xfffd
	v_cndmask_b32_e64 v15, 0, -1, vcc_lo
	v_cmp_eq_u32_e32 vcc_lo, s19, v10
	s_wait_alu 0xf1ff
	s_delay_alu instid0(VALU_DEP_2)
	v_cndmask_b32_e64 v7, v15, v7, s2
	s_wait_alu 0xfffd
	v_cndmask_b32_e32 v10, v14, v13, vcc_lo
	v_add_co_u32 v13, vcc_lo, v4, 1
	s_wait_alu 0xfffd
	v_add_co_ci_u32_e32 v14, vcc_lo, 0, v9, vcc_lo
	s_delay_alu instid0(VALU_DEP_3) | instskip(SKIP_2) | instid1(VALU_DEP_3)
	v_cmp_ne_u32_e32 vcc_lo, 0, v10
	s_wait_alu 0xfffd
	v_cndmask_b32_e32 v10, v13, v11, vcc_lo
	v_cndmask_b32_e32 v8, v14, v12, vcc_lo
	v_cmp_ne_u32_e32 vcc_lo, 0, v7
	s_wait_alu 0xfffd
	s_delay_alu instid0(VALU_DEP_2)
	v_dual_cndmask_b32 v7, v4, v10 :: v_dual_cndmask_b32 v8, v9, v8
.LBB0_4:                                ;   in Loop: Header=BB0_2 Depth=1
	s_wait_alu 0xfffe
	s_and_not1_saveexec_b32 s2, s20
	s_cbranch_execz .LBB0_6
; %bb.5:                                ;   in Loop: Header=BB0_2 Depth=1
	v_cvt_f32_u32_e32 v4, s18
	s_sub_co_i32 s20, 0, s18
	s_delay_alu instid0(VALU_DEP_1) | instskip(NEXT) | instid1(TRANS32_DEP_1)
	v_rcp_iflag_f32_e32 v4, v4
	v_mul_f32_e32 v4, 0x4f7ffffe, v4
	s_delay_alu instid0(VALU_DEP_1) | instskip(SKIP_1) | instid1(VALU_DEP_1)
	v_cvt_u32_f32_e32 v4, v4
	s_wait_alu 0xfffe
	v_mul_lo_u32 v7, s20, v4
	s_delay_alu instid0(VALU_DEP_1) | instskip(NEXT) | instid1(VALU_DEP_1)
	v_mul_hi_u32 v7, v4, v7
	v_add_nc_u32_e32 v4, v4, v7
	s_delay_alu instid0(VALU_DEP_1) | instskip(NEXT) | instid1(VALU_DEP_1)
	v_mul_hi_u32 v4, v5, v4
	v_mul_lo_u32 v7, v4, s18
	v_add_nc_u32_e32 v8, 1, v4
	s_delay_alu instid0(VALU_DEP_2) | instskip(NEXT) | instid1(VALU_DEP_1)
	v_sub_nc_u32_e32 v7, v5, v7
	v_subrev_nc_u32_e32 v9, s18, v7
	v_cmp_le_u32_e32 vcc_lo, s18, v7
	s_wait_alu 0xfffd
	s_delay_alu instid0(VALU_DEP_2) | instskip(NEXT) | instid1(VALU_DEP_1)
	v_dual_cndmask_b32 v7, v7, v9 :: v_dual_cndmask_b32 v4, v4, v8
	v_cmp_le_u32_e32 vcc_lo, s18, v7
	s_delay_alu instid0(VALU_DEP_2) | instskip(SKIP_1) | instid1(VALU_DEP_1)
	v_add_nc_u32_e32 v8, 1, v4
	s_wait_alu 0xfffd
	v_dual_cndmask_b32 v7, v4, v8 :: v_dual_mov_b32 v8, v3
.LBB0_6:                                ;   in Loop: Header=BB0_2 Depth=1
	s_wait_alu 0xfffe
	s_or_b32 exec_lo, exec_lo, s2
	s_load_b64 s[20:21], s[12:13], 0x0
	s_delay_alu instid0(VALU_DEP_1)
	v_mul_lo_u32 v4, v8, s18
	v_mul_lo_u32 v11, v7, s19
	v_mad_co_u64_u32 v[9:10], null, v7, s18, 0
	s_add_nc_u64 s[14:15], s[14:15], 1
	s_add_nc_u64 s[12:13], s[12:13], 8
	s_wait_alu 0xfffe
	v_cmp_ge_u64_e64 s2, s[14:15], s[6:7]
	s_add_nc_u64 s[16:17], s[16:17], 8
	s_delay_alu instid0(VALU_DEP_2) | instskip(NEXT) | instid1(VALU_DEP_3)
	v_add3_u32 v4, v10, v11, v4
	v_sub_co_u32 v5, vcc_lo, v5, v9
	s_wait_alu 0xfffd
	s_delay_alu instid0(VALU_DEP_2) | instskip(SKIP_3) | instid1(VALU_DEP_2)
	v_sub_co_ci_u32_e32 v4, vcc_lo, v6, v4, vcc_lo
	s_and_b32 vcc_lo, exec_lo, s2
	s_wait_kmcnt 0x0
	v_mul_lo_u32 v6, s21, v5
	v_mul_lo_u32 v4, s20, v4
	v_mad_co_u64_u32 v[1:2], null, s20, v5, v[1:2]
	s_delay_alu instid0(VALU_DEP_1)
	v_add3_u32 v2, v6, v2, v4
	s_wait_alu 0xfffe
	s_cbranch_vccnz .LBB0_9
; %bb.7:                                ;   in Loop: Header=BB0_2 Depth=1
	v_dual_mov_b32 v5, v7 :: v_dual_mov_b32 v6, v8
	s_branch .LBB0_2
.LBB0_8:
	v_dual_mov_b32 v8, v6 :: v_dual_mov_b32 v7, v5
.LBB0_9:
	s_lshl_b64 s[2:3], s[6:7], 3
	v_mul_hi_u32 v5, 0x11bb4a5, v0
	s_wait_alu 0xfffe
	s_add_nc_u64 s[2:3], s[10:11], s[2:3]
	s_load_b64 s[2:3], s[2:3], 0x0
	s_load_b64 s[0:1], s[0:1], 0x20
	s_wait_kmcnt 0x0
	v_mul_lo_u32 v3, s2, v8
	v_mul_lo_u32 v4, s3, v7
	v_mad_co_u64_u32 v[1:2], null, s2, v7, v[1:2]
	v_cmp_gt_u64_e32 vcc_lo, s[0:1], v[7:8]
	s_delay_alu instid0(VALU_DEP_2) | instskip(SKIP_1) | instid1(VALU_DEP_2)
	v_add3_u32 v2, v4, v2, v3
	v_mul_u32_u24_e32 v3, 0xe7, v5
	v_lshlrev_b64_e32 v[10:11], 2, v[1:2]
	s_delay_alu instid0(VALU_DEP_2)
	v_sub_nc_u32_e32 v8, v0, v3
	s_and_saveexec_b32 s1, vcc_lo
	s_cbranch_execz .LBB0_13
; %bb.10:
	v_mov_b32_e32 v9, 0
	s_delay_alu instid0(VALU_DEP_3) | instskip(SKIP_2) | instid1(VALU_DEP_3)
	v_add_co_u32 v0, s0, s8, v10
	s_wait_alu 0xf1ff
	v_add_co_ci_u32_e64 v1, s0, s9, v11, s0
	v_lshlrev_b64_e32 v[2:3], 2, v[8:9]
	s_mov_b32 s2, exec_lo
	s_delay_alu instid0(VALU_DEP_1) | instskip(SKIP_1) | instid1(VALU_DEP_2)
	v_add_co_u32 v2, s0, v0, v2
	s_wait_alu 0xf1ff
	v_add_co_ci_u32_e64 v3, s0, v1, v3, s0
	s_clause 0x5
	global_load_b32 v4, v[2:3], off
	global_load_b32 v5, v[2:3], off offset:924
	global_load_b32 v6, v[2:3], off offset:1848
	;; [unrolled: 1-line block ×5, first 2 shown]
	v_lshl_add_u32 v3, v8, 2, 0
	s_delay_alu instid0(VALU_DEP_1)
	v_add_nc_u32_e32 v14, 0xe40, v3
	v_add_nc_u32_e32 v13, 0x700, v3
	s_wait_loadcnt 0x4
	ds_store_2addr_b32 v3, v4, v5 offset1:231
	s_wait_loadcnt 0x2
	ds_store_2addr_b32 v13, v6, v7 offset0:14 offset1:245
	s_wait_loadcnt 0x0
	ds_store_2addr_b32 v14, v12, v2 offset0:12 offset1:243
	v_cmpx_eq_u32_e32 0xe6, v8
	s_cbranch_execz .LBB0_12
; %bb.11:
	global_load_b32 v0, v[0:1], off offset:5544
	v_mov_b32_e32 v8, 0xe6
	s_wait_loadcnt 0x0
	ds_store_b32 v9, v0 offset:5544
.LBB0_12:
	s_wait_alu 0xfffe
	s_or_b32 exec_lo, exec_lo, s2
.LBB0_13:
	s_wait_alu 0xfffe
	s_or_b32 exec_lo, exec_lo, s1
	v_lshlrev_b32_e32 v0, 2, v8
	global_wb scope:SCOPE_SE
	s_wait_dscnt 0x0
	s_barrier_signal -1
	s_barrier_wait -1
	global_inv scope:SCOPE_SE
	v_add_nc_u32_e32 v25, 0, v0
	v_sub_nc_u32_e32 v2, 0, v0
	s_mov_b32 s1, exec_lo
                                        ; implicit-def: $vgpr0_vgpr1
	ds_load_u16 v5, v25
	ds_load_u16 v6, v2 offset:5544
	s_wait_dscnt 0x0
	v_add_f16_e32 v4, v6, v5
	v_sub_f16_e32 v3, v5, v6
	v_cmpx_ne_u32_e32 0, v8
	s_wait_alu 0xfffe
	s_xor_b32 s1, exec_lo, s1
	s_cbranch_execz .LBB0_15
; %bb.14:
	v_mov_b32_e32 v9, 0
	v_add_f16_e32 v4, v6, v5
	v_sub_f16_e32 v5, v5, v6
	s_delay_alu instid0(VALU_DEP_3) | instskip(NEXT) | instid1(VALU_DEP_1)
	v_lshlrev_b64_e32 v[0:1], 2, v[8:9]
	v_add_co_u32 v0, s0, s4, v0
	s_wait_alu 0xf1ff
	s_delay_alu instid0(VALU_DEP_2)
	v_add_co_ci_u32_e64 v1, s0, s5, v1, s0
	global_load_b32 v0, v[0:1], off offset:5536
	ds_load_u16 v1, v2 offset:5546
	ds_load_u16 v3, v25 offset:2
	s_wait_dscnt 0x0
	v_add_f16_e32 v6, v1, v3
	v_sub_f16_e32 v1, v3, v1
	s_wait_loadcnt 0x0
	v_lshrrev_b32_e32 v7, 16, v0
	s_delay_alu instid0(VALU_DEP_1) | instskip(NEXT) | instid1(VALU_DEP_3)
	v_fma_f16 v12, -v5, v7, v4
	v_fma_f16 v13, v6, v7, -v1
	v_fma_f16 v3, v6, v7, v1
	v_fma_f16 v4, v5, v7, v4
	s_delay_alu instid0(VALU_DEP_4) | instskip(NEXT) | instid1(VALU_DEP_4)
	v_fmac_f16_e32 v12, v0, v6
	v_fmac_f16_e32 v13, v5, v0
	s_delay_alu instid0(VALU_DEP_4) | instskip(NEXT) | instid1(VALU_DEP_4)
	v_fmac_f16_e32 v3, v5, v0
	v_fma_f16 v4, -v0, v6, v4
	v_dual_mov_b32 v0, v8 :: v_dual_mov_b32 v1, v9
	s_delay_alu instid0(VALU_DEP_4)
	v_pack_b32_f16 v5, v12, v13
	ds_store_b32 v2, v5 offset:5544
.LBB0_15:
	s_wait_alu 0xfffe
	s_and_not1_saveexec_b32 s0, s1
	s_cbranch_execz .LBB0_17
; %bb.16:
	v_mov_b32_e32 v5, 0
	ds_load_b32 v0, v5 offset:2772
	s_wait_dscnt 0x0
	v_pk_mul_f16 v6, 0xc0004000, v0
	v_mov_b32_e32 v0, 0
	v_mov_b32_e32 v1, 0
	ds_store_b32 v5, v6 offset:2772
.LBB0_17:
	s_wait_alu 0xfffe
	s_or_b32 exec_lo, exec_lo, s0
	v_lshlrev_b64_e32 v[0:1], 2, v[0:1]
	s_add_nc_u64 s[0:1], s[4:5], 0x15a0
	s_wait_alu 0xfffe
	s_delay_alu instid0(VALU_DEP_1) | instskip(SKIP_1) | instid1(VALU_DEP_2)
	v_add_co_u32 v0, s0, s0, v0
	s_wait_alu 0xf1ff
	v_add_co_ci_u32_e64 v1, s0, s1, v1, s0
	v_cmp_gt_u32_e64 s0, 0xc6, v8
	s_clause 0x1
	global_load_b32 v5, v[0:1], off offset:924
	global_load_b32 v0, v[0:1], off offset:1848
	v_perm_b32 v1, v3, v4, 0x5040100
	ds_store_b32 v25, v1
	ds_load_b32 v1, v25 offset:924
	ds_load_b32 v3, v2 offset:4620
	s_wait_dscnt 0x1
	v_lshrrev_b32_e32 v4, 16, v1
	s_wait_dscnt 0x0
	v_lshrrev_b32_e32 v6, 16, v3
	v_add_f16_e32 v7, v1, v3
	v_sub_f16_e32 v1, v1, v3
	s_delay_alu instid0(VALU_DEP_3) | instskip(SKIP_3) | instid1(VALU_DEP_1)
	v_add_f16_e32 v3, v6, v4
	v_sub_f16_e32 v4, v4, v6
	s_wait_loadcnt 0x1
	v_lshrrev_b32_e32 v9, 16, v5
	v_fma_f16 v6, v1, v9, v7
	s_delay_alu instid0(VALU_DEP_3) | instskip(SKIP_2) | instid1(VALU_DEP_4)
	v_fma_f16 v12, v3, v9, v4
	v_fma_f16 v7, -v1, v9, v7
	v_fma_f16 v4, v3, v9, -v4
	v_fma_f16 v6, -v5, v3, v6
	s_delay_alu instid0(VALU_DEP_4) | instskip(NEXT) | instid1(VALU_DEP_4)
	v_fmac_f16_e32 v12, v1, v5
	v_fmac_f16_e32 v7, v5, v3
	s_delay_alu instid0(VALU_DEP_4) | instskip(NEXT) | instid1(VALU_DEP_3)
	v_fmac_f16_e32 v4, v1, v5
	v_pack_b32_f16 v1, v6, v12
	s_wait_loadcnt 0x0
	v_lshrrev_b32_e32 v6, 16, v0
	s_delay_alu instid0(VALU_DEP_3)
	v_pack_b32_f16 v3, v7, v4
	ds_store_b32 v25, v1 offset:924
	ds_store_b32 v2, v3 offset:4620
	ds_load_b32 v1, v25 offset:1848
	ds_load_b32 v3, v2 offset:3696
	s_wait_dscnt 0x1
	v_lshrrev_b32_e32 v4, 16, v1
	s_wait_dscnt 0x0
	v_lshrrev_b32_e32 v5, 16, v3
	v_add_f16_e32 v7, v1, v3
	v_sub_f16_e32 v1, v1, v3
	s_delay_alu instid0(VALU_DEP_3) | instskip(SKIP_1) | instid1(VALU_DEP_3)
	v_add_f16_e32 v3, v5, v4
	v_sub_f16_e32 v4, v4, v5
	v_fma_f16 v5, v1, v6, v7
	v_fma_f16 v7, -v1, v6, v7
	s_delay_alu instid0(VALU_DEP_3) | instskip(SKIP_1) | instid1(VALU_DEP_4)
	v_fma_f16 v9, v3, v6, v4
	v_fma_f16 v4, v3, v6, -v4
	v_fma_f16 v5, -v0, v3, v5
	s_delay_alu instid0(VALU_DEP_4) | instskip(SKIP_4) | instid1(VALU_DEP_3)
	v_fmac_f16_e32 v7, v0, v3
	v_add_nc_u32_e32 v3, 0x700, v25
	v_fmac_f16_e32 v9, v1, v0
	v_fmac_f16_e32 v4, v1, v0
	v_add_nc_u32_e32 v6, 0xe7, v8
	v_pack_b32_f16 v0, v5, v9
	s_delay_alu instid0(VALU_DEP_3)
	v_pack_b32_f16 v1, v7, v4
	v_add_nc_u32_e32 v4, 0xe40, v25
	ds_store_b32 v25, v0 offset:1848
	ds_store_b32 v2, v1 offset:3696
	global_wb scope:SCOPE_SE
	s_wait_dscnt 0x0
	s_barrier_signal -1
	s_barrier_wait -1
	global_inv scope:SCOPE_SE
	global_wb scope:SCOPE_SE
	s_barrier_signal -1
	s_barrier_wait -1
	global_inv scope:SCOPE_SE
	ds_load_2addr_b32 v[12:13], v25 offset1:231
	ds_load_2addr_b32 v[2:3], v3 offset0:14 offset1:245
	ds_load_2addr_b32 v[14:15], v4 offset0:12 offset1:243
	v_lshlrev_b32_e32 v0, 3, v8
	v_lshl_add_u32 v7, v8, 2, v25
	v_lshl_add_u32 v16, v6, 3, 0
	global_wb scope:SCOPE_SE
	s_wait_dscnt 0x0
	s_barrier_signal -1
	v_add3_u32 v17, v0, 0, 0xe70
	s_barrier_wait -1
	global_inv scope:SCOPE_SE
	v_pk_add_f16 v1, v12, v3 neg_lo:[0,1] neg_hi:[0,1]
	v_pk_add_f16 v5, v13, v14 neg_lo:[0,1] neg_hi:[0,1]
	;; [unrolled: 1-line block ×3, first 2 shown]
	s_delay_alu instid0(VALU_DEP_3) | instskip(NEXT) | instid1(VALU_DEP_3)
	v_pk_fma_f16 v0, v12, 2.0, v1 op_sel_hi:[1,0,1] neg_lo:[0,0,1] neg_hi:[0,0,1]
	v_pk_fma_f16 v4, v13, 2.0, v5 op_sel_hi:[1,0,1] neg_lo:[0,0,1] neg_hi:[0,0,1]
	s_delay_alu instid0(VALU_DEP_3)
	v_pk_fma_f16 v2, v2, 2.0, v3 op_sel_hi:[1,0,1] neg_lo:[0,0,1] neg_hi:[0,0,1]
	v_lshrrev_b32_e32 v9, 16, v1
	v_lshrrev_b32_e32 v12, 16, v5
	;; [unrolled: 1-line block ×5, first 2 shown]
	ds_store_2addr_b32 v7, v0, v1 offset1:1
	ds_store_2addr_b32 v16, v4, v5 offset1:1
	;; [unrolled: 1-line block ×3, first 2 shown]
	global_wb scope:SCOPE_SE
	s_wait_dscnt 0x0
	s_barrier_signal -1
	s_barrier_wait -1
	global_inv scope:SCOPE_SE
                                        ; implicit-def: $vgpr17
                                        ; implicit-def: $vgpr16
	s_and_saveexec_b32 s1, s0
	s_cbranch_execz .LBB0_19
; %bb.18:
	v_add_nc_u32_e32 v2, 0x600, v25
	v_add_nc_u32_e32 v3, 0xc00, v25
	ds_load_2addr_b32 v[0:1], v25 offset1:198
	ds_load_2addr_b32 v[4:5], v2 offset0:12 offset1:210
	ds_load_2addr_b32 v[2:3], v3 offset0:24 offset1:222
	ds_load_b32 v16, v25 offset:4752
	s_wait_dscnt 0x3
	v_lshrrev_b32_e32 v9, 16, v1
	s_wait_dscnt 0x2
	v_lshrrev_b32_e32 v14, 16, v4
	v_lshrrev_b32_e32 v12, 16, v5
	s_wait_dscnt 0x1
	v_lshrrev_b32_e32 v15, 16, v2
	;; [unrolled: 3-line block ×3, first 2 shown]
.LBB0_19:
	s_wait_alu 0xfffe
	s_or_b32 exec_lo, exec_lo, s1
	v_and_b32_e32 v7, 1, v8
	v_lshrrev_b32_e32 v34, 16, v0
	s_delay_alu instid0(VALU_DEP_2) | instskip(NEXT) | instid1(VALU_DEP_1)
	v_mul_u32_u24_e32 v18, 6, v7
	v_lshlrev_b32_e32 v22, 2, v18
	s_clause 0x1
	global_load_b128 v[18:21], v22, s[4:5]
	global_load_b64 v[22:23], v22, s[4:5] offset:16
	global_wb scope:SCOPE_SE
	s_wait_loadcnt 0x0
	s_barrier_signal -1
	s_barrier_wait -1
	global_inv scope:SCOPE_SE
	v_lshrrev_b32_e32 v24, 16, v18
	v_lshrrev_b32_e32 v26, 16, v19
	;; [unrolled: 1-line block ×6, first 2 shown]
	v_mul_f16_e32 v31, v9, v24
	v_mul_f16_e32 v24, v1, v24
	;; [unrolled: 1-line block ×12, first 2 shown]
	v_fmac_f16_e32 v31, v1, v18
	v_fma_f16 v1, v9, v18, -v24
	v_fmac_f16_e32 v32, v4, v19
	v_fma_f16 v9, v14, v19, -v26
	v_fmac_f16_e32 v35, v2, v21
	v_fmac_f16_e32 v37, v16, v23
	v_fma_f16 v2, v17, v23, -v30
	v_fmac_f16_e32 v36, v3, v22
	v_fma_f16 v3, v13, v22, -v29
	;; [unrolled: 2-line block ×3, first 2 shown]
	v_fma_f16 v14, v15, v21, -v28
	v_add_f16_e32 v5, v31, v37
	v_add_f16_e32 v16, v1, v2
	;; [unrolled: 1-line block ×4, first 2 shown]
	v_sub_f16_e32 v20, v31, v37
	v_sub_f16_e32 v4, v1, v2
	;; [unrolled: 1-line block ×4, first 2 shown]
	v_add_f16_e32 v1, v33, v35
	v_add_f16_e32 v2, v12, v14
	v_sub_f16_e32 v3, v35, v33
	v_sub_f16_e32 v9, v14, v12
	v_add_f16_e32 v12, v15, v5
	v_add_f16_e32 v14, v19, v16
	v_sub_f16_e32 v17, v5, v1
	v_sub_f16_e32 v18, v16, v2
	;; [unrolled: 4-line block ×3, first 2 shown]
	v_sub_f16_e32 v3, v20, v3
	v_sub_f16_e32 v9, v4, v9
	v_add_f16_e32 v12, v1, v12
	v_add_f16_e32 v14, v2, v14
	v_sub_f16_e32 v30, v1, v15
	v_sub_f16_e32 v31, v2, v19
	v_add_f16_e32 v32, v26, v4
	v_mul_f16_e32 v26, 0x3a52, v17
	v_mul_f16_e32 v28, 0x3a52, v18
	;; [unrolled: 1-line block ×4, first 2 shown]
	v_add_f16_e32 v0, v0, v12
	v_add_f16_e32 v1, v34, v14
	;; [unrolled: 1-line block ×3, first 2 shown]
	v_fmamk_f16 v9, v30, 0x2b26, v26
	v_fmamk_f16 v18, v31, 0x2b26, v28
	;; [unrolled: 1-line block ×6, first 2 shown]
	s_delay_alu instid0(VALU_DEP_4) | instskip(NEXT) | instid1(VALU_DEP_4)
	v_fmac_f16_e32 v2, 0xb70e, v33
	v_fmac_f16_e32 v3, 0xb70e, v32
	s_delay_alu instid0(VALU_DEP_4) | instskip(NEXT) | instid1(VALU_DEP_4)
	v_add_f16_e32 v14, v9, v17
	v_add_f16_e32 v18, v18, v23
	s_delay_alu instid0(VALU_DEP_2) | instskip(NEXT) | instid1(VALU_DEP_2)
	v_sub_f16_e32 v12, v14, v3
	v_add_f16_e32 v9, v2, v18
	s_and_saveexec_b32 s1, s0
	s_cbranch_execz .LBB0_21
; %bb.20:
	v_sub_f16_e32 v5, v15, v5
	v_sub_f16_e32 v4, v13, v4
	v_mul_f16_e32 v21, 0x3846, v21
	v_mul_f16_e32 v30, 0x2b26, v30
	;; [unrolled: 1-line block ×3, first 2 shown]
	v_sub_f16_e32 v20, v22, v20
	v_sub_f16_e32 v16, v19, v16
	v_mul_f16_e32 v15, 0x3846, v24
	v_fma_f16 v24, v5, 0xb9e0, -v26
	v_fma_f16 v26, v4, 0x3b00, -v27
	;; [unrolled: 1-line block ×3, first 2 shown]
	v_lshrrev_b32_e32 v21, 1, v8
	v_mul_f16_e32 v33, 0xb70e, v33
	v_mul_f16_e32 v22, 0xb70e, v32
	v_fma_f16 v19, v20, 0x3b00, -v29
	v_fma_f16 v13, v16, 0xb9e0, -v28
	;; [unrolled: 1-line block ×5, first 2 shown]
	v_mul_u32_u24_e32 v21, 14, v21
	v_add_f16_e32 v19, v33, v19
	v_add_f16_e32 v13, v13, v23
	;; [unrolled: 1-line block ×8, first 2 shown]
	v_or_b32_e32 v7, v21, v7
	v_sub_f16_e32 v2, v18, v2
	v_add_f16_e32 v3, v3, v14
	v_add_f16_e32 v17, v19, v13
	v_sub_f16_e32 v23, v16, v15
	v_add_f16_e32 v26, v4, v5
	v_add_f16_e32 v15, v15, v16
	v_sub_f16_e32 v13, v13, v19
	v_add_f16_e32 v14, v20, v24
	v_sub_f16_e32 v4, v5, v4
	v_sub_f16_e32 v22, v24, v20
	v_lshl_add_u32 v5, v7, 2, 0
	v_perm_b32 v0, v1, v0, 0x5040100
	v_pack_b32_f16 v1, v3, v2
	v_pack_b32_f16 v2, v14, v13
	;; [unrolled: 1-line block ×5, first 2 shown]
	v_perm_b32 v13, v9, v12, 0x5040100
	ds_store_2addr_b32 v5, v0, v1 offset1:2
	ds_store_2addr_b32 v5, v2, v3 offset0:4 offset1:6
	ds_store_2addr_b32 v5, v4, v7 offset0:8 offset1:10
	ds_store_b32 v5, v13 offset:48
.LBB0_21:
	s_wait_alu 0xfffe
	s_or_b32 exec_lo, exec_lo, s1
	v_lshrrev_b16 v0, 1, v8
	v_lshrrev_b16 v1, 1, v6
	global_wb scope:SCOPE_SE
	s_wait_dscnt 0x0
	s_barrier_signal -1
	s_barrier_wait -1
	v_and_b32_e32 v0, 0x7f, v0
	v_and_b32_e32 v1, 0xffff, v1
	global_inv scope:SCOPE_SE
	v_add_nc_u32_e32 v13, 0x700, v25
	v_add_nc_u32_e32 v15, 0xe40, v25
	v_mul_lo_u16 v2, 0x93, v0
	v_mul_u32_u24_e32 v1, 0x4925, v1
	v_cmp_gt_u32_e64 s0, 0x7e, v8
                                        ; implicit-def: $vgpr35
                                        ; implicit-def: $vgpr34
                                        ; implicit-def: $vgpr36
	s_delay_alu instid0(VALU_DEP_3) | instskip(NEXT) | instid1(VALU_DEP_3)
	v_lshrrev_b16 v5, 10, v2
	v_lshrrev_b32_e32 v7, 17, v1
	s_delay_alu instid0(VALU_DEP_2) | instskip(NEXT) | instid1(VALU_DEP_2)
	v_mul_lo_u16 v1, v5, 14
	v_mul_lo_u16 v2, v7, 14
	v_and_b32_e32 v5, 0xffff, v5
	v_mul_u32_u24_e32 v7, 0xa8, v7
	s_delay_alu instid0(VALU_DEP_4) | instskip(NEXT) | instid1(VALU_DEP_4)
	v_sub_nc_u16 v1, v8, v1
	v_sub_nc_u16 v2, v6, v2
	s_delay_alu instid0(VALU_DEP_4) | instskip(NEXT) | instid1(VALU_DEP_3)
	v_mul_u32_u24_e32 v5, 0xa8, v5
	v_and_b32_e32 v19, 0xff, v1
	s_delay_alu instid0(VALU_DEP_3) | instskip(NEXT) | instid1(VALU_DEP_2)
	v_and_b32_e32 v20, 0xffff, v2
	v_lshlrev_b32_e32 v1, 3, v19
	s_delay_alu instid0(VALU_DEP_2)
	v_lshlrev_b32_e32 v3, 3, v20
	v_lshlrev_b32_e32 v19, 2, v19
	;; [unrolled: 1-line block ×3, first 2 shown]
	s_clause 0x1
	global_load_b64 v[1:2], v1, s[4:5] offset:48
	global_load_b64 v[3:4], v3, s[4:5] offset:48
	ds_load_2addr_b32 v[17:18], v25 offset1:231
	ds_load_2addr_b32 v[13:14], v13 offset0:14 offset1:245
	ds_load_2addr_b32 v[15:16], v15 offset0:12 offset1:243
	ds_load_u16 v27, v25 offset:2
	v_add3_u32 v5, 0, v5, v19
	v_add3_u32 v7, 0, v7, v20
	global_wb scope:SCOPE_SE
	s_wait_loadcnt_dscnt 0x0
	s_barrier_signal -1
	s_barrier_wait -1
	global_inv scope:SCOPE_SE
	v_lshrrev_b32_e32 v28, 16, v18
	v_lshrrev_b32_e32 v21, 16, v13
	v_lshrrev_b32_e32 v22, 16, v15
	v_lshrrev_b32_e32 v23, 16, v14
	v_lshrrev_b32_e32 v24, 16, v16
	v_lshrrev_b32_e32 v19, 16, v1
	v_lshrrev_b32_e32 v20, 16, v2
	v_lshrrev_b32_e32 v26, 16, v3
	v_lshrrev_b32_e32 v29, 16, v4
	s_delay_alu instid0(VALU_DEP_4)
	v_mul_f16_e32 v30, v19, v21
	v_mul_f16_e32 v19, v19, v13
	;; [unrolled: 1-line block ×8, first 2 shown]
	v_fmac_f16_e32 v30, v1, v13
	v_fma_f16 v1, v1, v21, -v19
	v_fmac_f16_e32 v31, v2, v15
	v_fma_f16 v2, v2, v22, -v20
	;; [unrolled: 2-line block ×4, first 2 shown]
	v_add_f16_e32 v14, v30, v31
	v_sub_f16_e32 v21, v1, v2
	v_add_f16_e32 v16, v27, v1
	v_add_f16_e32 v1, v1, v2
	v_add_f16_e32 v23, v32, v33
	v_sub_f16_e32 v24, v3, v4
	v_add_f16_e32 v29, v28, v3
	v_add_f16_e32 v3, v3, v4
	;; [unrolled: 1-line block ×3, first 2 shown]
	v_sub_f16_e32 v22, v30, v31
	v_add_f16_e32 v20, v18, v32
	v_sub_f16_e32 v32, v32, v33
	v_fma_f16 v19, -0.5, v14, v17
	v_fmac_f16_e32 v27, -0.5, v1
	v_fmac_f16_e32 v18, -0.5, v23
	;; [unrolled: 1-line block ×3, first 2 shown]
	v_add_f16_e32 v15, v13, v31
	v_add_f16_e32 v26, v16, v2
	v_fmamk_f16 v16, v21, 0xbaee, v19
	v_fmamk_f16 v30, v22, 0x3aee, v27
	;; [unrolled: 1-line block ×4, first 2 shown]
	v_fmac_f16_e32 v19, 0x3aee, v21
	v_fmac_f16_e32 v27, 0xbaee, v22
	v_add_f16_e32 v20, v20, v33
	v_add_f16_e32 v29, v29, v4
	v_fmac_f16_e32 v18, 0x3aee, v24
	v_fmac_f16_e32 v28, 0xbaee, v32
	v_pack_b32_f16 v1, v15, v26
	v_pack_b32_f16 v3, v16, v30
	;; [unrolled: 1-line block ×6, first 2 shown]
	ds_store_2addr_b32 v5, v1, v3 offset1:14
	ds_store_b32 v5, v4 offset:112
	ds_store_2addr_b32 v7, v2, v13 offset1:14
	ds_store_b32 v7, v14 offset:112
	global_wb scope:SCOPE_SE
	s_wait_dscnt 0x0
	s_barrier_signal -1
	s_barrier_wait -1
	global_inv scope:SCOPE_SE
                                        ; implicit-def: $vgpr33
                                        ; implicit-def: $vgpr32
                                        ; implicit-def: $vgpr22
	s_and_saveexec_b32 s1, s0
	s_cbranch_execz .LBB0_23
; %bb.22:
	v_add_nc_u32_e32 v1, 0xe00, v25
	v_add_nc_u32_e32 v2, 0x200, v25
	;; [unrolled: 1-line block ×3, first 2 shown]
	ds_load_2addr_b32 v[15:16], v25 offset1:126
	ds_load_b32 v32, v25 offset:5040
	ds_load_2addr_b32 v[21:22], v1 offset0:112 offset1:238
	v_add_nc_u32_e32 v1, 0xa00, v25
	ds_load_2addr_b32 v[19:20], v2 offset0:124 offset1:250
	ds_load_2addr_b32 v[17:18], v3 offset0:120 offset1:246
	;; [unrolled: 1-line block ×3, first 2 shown]
	s_wait_dscnt 0x5
	v_lshrrev_b32_e32 v26, 16, v15
	s_wait_dscnt 0x4
	v_lshrrev_b32_e32 v33, 16, v32
	v_lshrrev_b32_e32 v30, 16, v16
	s_wait_dscnt 0x3
	v_lshrrev_b32_e32 v34, 16, v21
	;; [unrolled: 3-line block ×5, first 2 shown]
	v_lshrrev_b32_e32 v36, 16, v13
.LBB0_23:
	s_wait_alu 0xfffe
	s_or_b32 exec_lo, exec_lo, s1
	v_lshlrev_b32_e32 v14, 1, v6
	global_wb scope:SCOPE_SE
	s_barrier_signal -1
	s_barrier_wait -1
	global_inv scope:SCOPE_SE
	s_and_saveexec_b32 s1, s0
	s_cbranch_execz .LBB0_25
; %bb.24:
	v_mul_lo_u16 v0, v0, 49
	s_delay_alu instid0(VALU_DEP_1) | instskip(NEXT) | instid1(VALU_DEP_1)
	v_lshrrev_b16 v37, 10, v0
	v_mul_lo_u16 v0, v37, 42
	v_and_b32_e32 v37, 0xffff, v37
	s_delay_alu instid0(VALU_DEP_2) | instskip(NEXT) | instid1(VALU_DEP_2)
	v_sub_nc_u16 v0, v8, v0
	v_mul_u32_u24_e32 v37, 0x738, v37
	s_delay_alu instid0(VALU_DEP_2) | instskip(NEXT) | instid1(VALU_DEP_1)
	v_and_b32_e32 v38, 0xff, v0
	v_mul_u32_u24_e32 v0, 10, v38
	v_lshlrev_b32_e32 v38, 2, v38
	s_delay_alu instid0(VALU_DEP_2) | instskip(NEXT) | instid1(VALU_DEP_2)
	v_lshlrev_b32_e32 v23, 2, v0
	v_add3_u32 v37, 0, v37, v38
	s_clause 0x2
	global_load_b128 v[0:3], v23, s[4:5] offset:160
	global_load_b128 v[4:7], v23, s[4:5] offset:176
	global_load_b64 v[23:24], v23, s[4:5] offset:192
	v_add_nc_u32_e32 v38, 0x200, v37
	v_add_nc_u32_e32 v39, 0x400, v37
	s_wait_loadcnt 0x2
	v_lshrrev_b32_e32 v40, 16, v0
	v_lshrrev_b32_e32 v41, 16, v1
	s_wait_loadcnt 0x0
	v_lshrrev_b32_e32 v45, 16, v24
	v_lshrrev_b32_e32 v42, 16, v2
	;; [unrolled: 1-line block ×8, first 2 shown]
	v_mul_f16_e32 v50, v32, v45
	v_mul_f16_e32 v51, v16, v40
	;; [unrolled: 1-line block ×18, first 2 shown]
	v_fma_f16 v33, v33, v24, -v50
	v_fma_f16 v30, v30, v0, -v51
	v_fmac_f16_e32 v40, v16, v0
	v_mul_f16_e32 v49, v35, v49
	v_mul_f16_e32 v46, v9, v46
	v_fmac_f16_e32 v45, v32, v24
	v_fma_f16 v0, v35, v23, -v52
	v_fma_f16 v16, v27, v1, -v53
	v_fmac_f16_e32 v41, v19, v1
	v_fma_f16 v1, v34, v7, -v54
	v_fma_f16 v19, v29, v2, -v55
	v_fmac_f16_e32 v42, v20, v2
	v_fmac_f16_e32 v48, v21, v7
	v_fma_f16 v2, v36, v6, -v56
	v_fma_f16 v7, v31, v3, -v57
	v_fmac_f16_e32 v43, v17, v3
	;; [unrolled: 4-line block ×3, first 2 shown]
	v_add_f16_e32 v4, v30, v33
	v_sub_f16_e32 v24, v30, v33
	v_add_f16_e32 v29, v15, v40
	v_add_f16_e32 v30, v26, v30
	v_fmac_f16_e32 v49, v22, v23
	v_fmac_f16_e32 v46, v12, v5
	v_sub_f16_e32 v5, v40, v45
	v_add_f16_e32 v9, v16, v0
	v_add_f16_e32 v13, v19, v1
	;; [unrolled: 1-line block ×5, first 2 shown]
	v_sub_f16_e32 v28, v16, v0
	v_sub_f16_e32 v31, v19, v1
	;; [unrolled: 1-line block ×4, first 2 shown]
	v_mul_f16_e32 v50, 0xbbad, v4
	v_mul_f16_e32 v55, 0xb482, v24
	;; [unrolled: 1-line block ×10, first 2 shown]
	v_add_f16_e32 v29, v29, v41
	v_add_f16_e32 v16, v30, v16
	v_sub_f16_e32 v12, v41, v49
	v_sub_f16_e32 v17, v42, v48
	;; [unrolled: 1-line block ×4, first 2 shown]
	v_add_f16_e32 v27, v41, v49
	v_add_f16_e32 v32, v42, v48
	;; [unrolled: 1-line block ×4, first 2 shown]
	v_mul_f16_e32 v51, 0x3abb, v9
	v_mul_f16_e32 v52, 0xb93d, v13
	;; [unrolled: 1-line block ×40, first 2 shown]
	v_fmamk_f16 v93, v23, 0xbbad, v55
	v_fmamk_f16 v95, v5, 0x3a0c, v57
	v_fmamk_f16 v100, v23, 0xb93d, v62
	v_fmamk_f16 v107, v23, 0xb08e, v69
	v_fmamk_f16 v112, v23, 0x36a6, v76
	v_fmamk_f16 v113, v23, 0x3abb, v24
	v_fma_f16 v55, v23, 0xbbad, -v55
	v_fma_f16 v62, v23, 0xb93d, -v62
	;; [unrolled: 1-line block ×5, first 2 shown]
	v_fmamk_f16 v115, v5, 0x3853, v4
	v_add_f16_e32 v16, v16, v19
	v_add_f16_e32 v19, v29, v42
	v_fmamk_f16 v88, v5, 0x3482, v50
	v_fmamk_f16 v89, v12, 0xb853, v51
	;; [unrolled: 1-line block ×22, first 2 shown]
	v_fmac_f16_e32 v50, 0xb482, v5
	v_fmac_f16_e32 v57, 0xba0c, v5
	v_fmac_f16_e32 v64, 0xbbeb, v5
	v_fmac_f16_e32 v71, 0xbb47, v5
	v_fmac_f16_e32 v4, 0xb853, v5
	v_fmamk_f16 v5, v12, 0x3b47, v9
	v_fmac_f16_e32 v51, 0x3853, v12
	v_fmac_f16_e32 v58, 0x3beb, v12
	v_fmac_f16_e32 v65, 0x3482, v12
	v_fmac_f16_e32 v72, 0xba0c, v12
	v_fmac_f16_e32 v9, 0xbb47, v12
	v_fmamk_f16 v12, v17, 0x3beb, v13
	;; [unrolled: 6-line block ×5, first 2 shown]
	v_fma_f16 v56, v27, 0x3abb, -v56
	v_fma_f16 v63, v27, 0xb08e, -v63
	;; [unrolled: 1-line block ×4, first 2 shown]
	v_fmamk_f16 v116, v27, 0x36a6, v28
	v_fma_f16 v27, v27, 0x36a6, -v28
	v_fmamk_f16 v28, v32, 0xb93d, v30
	v_fma_f16 v29, v32, 0xb93d, -v30
	;; [unrolled: 2-line block ×16, first 2 shown]
	v_add_f16_e32 v40, v15, v93
	v_add_f16_e32 v93, v15, v100
	;; [unrolled: 1-line block ×110, first 2 shown]
	v_pack_b32_f16 v2, v3, v2
	v_add_f16_e32 v3, v17, v45
	v_add_f16_e32 v0, v0, v33
	;; [unrolled: 1-line block ×4, first 2 shown]
	v_pack_b32_f16 v1, v12, v5
	v_pack_b32_f16 v5, v22, v24
	;; [unrolled: 1-line block ×10, first 2 shown]
	ds_store_2addr_b32 v37, v5, v12 offset0:84 offset1:126
	ds_store_2addr_b32 v37, v16, v13 offset0:168 offset1:210
	;; [unrolled: 1-line block ×4, first 2 shown]
	ds_store_2addr_b32 v37, v0, v1 offset1:42
	ds_store_b32 v37, v4 offset:1680
.LBB0_25:
	s_wait_alu 0xfffe
	s_or_b32 exec_lo, exec_lo, s1
	v_dual_mov_b32 v1, 0 :: v_dual_lshlrev_b32 v0, 1, v8
	global_wb scope:SCOPE_SE
	s_wait_dscnt 0x0
	s_barrier_signal -1
	s_barrier_wait -1
	global_inv scope:SCOPE_SE
	v_lshlrev_b64_e32 v[2:3], 2, v[0:1]
	v_dual_mov_b32 v15, v1 :: v_dual_add_nc_u32 v0, 0x700, v25
	v_add_nc_u32_e32 v9, 0xe40, v25
	ds_load_2addr_b32 v[6:7], v25 offset1:231
	v_lshlrev_b64_e32 v[4:5], 2, v[14:15]
	v_add_co_u32 v2, s0, s4, v2
	s_wait_alu 0xf1ff
	v_add_co_ci_u32_e64 v3, s0, s5, v3, s0
	s_delay_alu instid0(VALU_DEP_3)
	v_add_co_u32 v4, s0, s4, v4
	global_load_b64 v[2:3], v[2:3], off offset:1840
	s_wait_alu 0xf1ff
	v_add_co_ci_u32_e64 v5, s0, s5, v5, s0
	global_load_b64 v[4:5], v[4:5], off offset:1840
	ds_load_2addr_b32 v[12:13], v0 offset0:14 offset1:245
	ds_load_2addr_b32 v[14:15], v9 offset0:12 offset1:243
	global_wb scope:SCOPE_SE
	s_wait_loadcnt_dscnt 0x0
	s_barrier_signal -1
	v_lshrrev_b32_e32 v17, 16, v6
	v_lshrrev_b32_e32 v16, 16, v7
	s_barrier_wait -1
	global_inv scope:SCOPE_SE
	v_lshrrev_b32_e32 v18, 16, v12
	v_lshrrev_b32_e32 v20, 16, v14
	;; [unrolled: 1-line block ×6, first 2 shown]
	s_delay_alu instid0(VALU_DEP_2) | instskip(SKIP_1) | instid1(VALU_DEP_3)
	v_mul_f16_e32 v24, v19, v18
	v_mul_f16_e32 v19, v19, v12
	;; [unrolled: 1-line block ×3, first 2 shown]
	v_lshrrev_b32_e32 v27, 16, v4
	v_lshrrev_b32_e32 v28, 16, v5
	v_mul_f16_e32 v21, v21, v14
	v_fmac_f16_e32 v24, v2, v12
	v_fma_f16 v2, v2, v18, -v19
	v_fmac_f16_e32 v26, v3, v14
	v_mul_f16_e32 v12, v27, v22
	v_mul_f16_e32 v14, v27, v13
	;; [unrolled: 1-line block ×4, first 2 shown]
	v_fma_f16 v3, v3, v20, -v21
	v_fmac_f16_e32 v12, v4, v13
	v_fma_f16 v4, v4, v22, -v14
	v_fmac_f16_e32 v18, v5, v15
	v_fma_f16 v5, v5, v23, -v19
	v_add_f16_e32 v14, v24, v26
	v_add_f16_e32 v19, v2, v17
	v_sub_f16_e32 v15, v2, v3
	v_add_f16_e32 v2, v2, v3
	v_add_f16_e32 v13, v24, v6
	v_fma_f16 v6, -0.5, v14, v6
	v_add_f16_e32 v3, v19, v3
	v_add_f16_e32 v14, v12, v18
	v_sub_f16_e32 v19, v4, v5
	v_add_f16_e32 v21, v16, v4
	v_add_f16_e32 v4, v4, v5
	v_fmac_f16_e32 v17, -0.5, v2
	v_add_f16_e32 v2, v7, v12
	v_sub_f16_e32 v20, v24, v26
	v_add_f16_e32 v13, v13, v26
	v_sub_f16_e32 v12, v12, v18
	v_fmac_f16_e32 v7, -0.5, v14
	v_fmac_f16_e32 v16, -0.5, v4
	v_add_f16_e32 v2, v2, v18
	v_add_f16_e32 v4, v21, v5
	v_fmamk_f16 v22, v15, 0xbaee, v6
	v_fmac_f16_e32 v6, 0x3aee, v15
	v_fmamk_f16 v15, v20, 0x3aee, v17
	v_pack_b32_f16 v3, v13, v3
	v_fmamk_f16 v5, v19, 0xbaee, v7
	v_fmamk_f16 v13, v12, 0x3aee, v16
	v_fmac_f16_e32 v17, 0xbaee, v20
	v_fmac_f16_e32 v7, 0x3aee, v19
	;; [unrolled: 1-line block ×3, first 2 shown]
	v_pack_b32_f16 v2, v2, v4
	v_pack_b32_f16 v12, v22, v15
	;; [unrolled: 1-line block ×5, first 2 shown]
	ds_store_2addr_b32 v25, v3, v2 offset1:231
	ds_store_2addr_b32 v0, v12, v4 offset0:14 offset1:245
	ds_store_2addr_b32 v9, v6, v5 offset0:12 offset1:243
	global_wb scope:SCOPE_SE
	s_wait_dscnt 0x0
	s_barrier_signal -1
	s_barrier_wait -1
	global_inv scope:SCOPE_SE
	s_and_saveexec_b32 s0, vcc_lo
	s_cbranch_execz .LBB0_27
; %bb.26:
	v_dual_mov_b32 v9, v1 :: v_dual_add_nc_u32 v0, 0xe7, v8
	v_lshl_add_u32 v15, v8, 2, 0
	v_add_co_u32 v19, vcc_lo, s8, v10
	s_delay_alu instid0(VALU_DEP_3) | instskip(NEXT) | instid1(VALU_DEP_4)
	v_lshlrev_b64_e32 v[4:5], 2, v[8:9]
	v_lshlrev_b64_e32 v[6:7], 2, v[0:1]
	v_add_nc_u32_e32 v0, 0x1ce, v8
	s_wait_alu 0xfffd
	v_add_co_ci_u32_e32 v20, vcc_lo, s9, v11, vcc_lo
	v_add_nc_u32_e32 v11, 0x700, v15
	ds_load_2addr_b32 v[2:3], v15 offset1:231
	v_lshlrev_b64_e32 v[9:10], 2, v[0:1]
	v_add_nc_u32_e32 v0, 0x2b5, v8
	v_add_nc_u32_e32 v15, 0xe40, v15
	ds_load_2addr_b32 v[11:12], v11 offset0:14 offset1:245
	v_add_co_u32 v4, vcc_lo, v19, v4
	v_lshlrev_b64_e32 v[13:14], 2, v[0:1]
	v_add_nc_u32_e32 v0, 0x39c, v8
	ds_load_2addr_b32 v[15:16], v15 offset0:12 offset1:243
	s_wait_alu 0xfffd
	v_add_co_ci_u32_e32 v5, vcc_lo, v20, v5, vcc_lo
	v_add_co_u32 v6, vcc_lo, v19, v6
	v_lshlrev_b64_e32 v[17:18], 2, v[0:1]
	v_add_nc_u32_e32 v0, 0x483, v8
	s_wait_alu 0xfffd
	v_add_co_ci_u32_e32 v7, vcc_lo, v20, v7, vcc_lo
	v_add_co_u32 v9, vcc_lo, v19, v9
	s_wait_alu 0xfffd
	v_add_co_ci_u32_e32 v10, vcc_lo, v20, v10, vcc_lo
	v_add_co_u32 v13, vcc_lo, v19, v13
	v_lshlrev_b64_e32 v[0:1], 2, v[0:1]
	s_wait_alu 0xfffd
	v_add_co_ci_u32_e32 v14, vcc_lo, v20, v14, vcc_lo
	v_add_co_u32 v17, vcc_lo, v19, v17
	s_wait_alu 0xfffd
	v_add_co_ci_u32_e32 v18, vcc_lo, v20, v18, vcc_lo
	v_add_co_u32 v0, vcc_lo, v19, v0
	s_wait_alu 0xfffd
	v_add_co_ci_u32_e32 v1, vcc_lo, v20, v1, vcc_lo
	s_wait_dscnt 0x2
	s_clause 0x1
	global_store_b32 v[4:5], v2, off
	global_store_b32 v[6:7], v3, off
	s_wait_dscnt 0x1
	s_clause 0x1
	global_store_b32 v[9:10], v11, off
	global_store_b32 v[13:14], v12, off
	;; [unrolled: 4-line block ×3, first 2 shown]
.LBB0_27:
	s_nop 0
	s_sendmsg sendmsg(MSG_DEALLOC_VGPRS)
	s_endpgm
	.section	.rodata,"a",@progbits
	.p2align	6, 0x0
	.amdhsa_kernel fft_rtc_back_len1386_factors_2_7_3_11_3_wgs_231_tpt_231_halfLds_half_ip_CI_unitstride_sbrr_C2R_dirReg
		.amdhsa_group_segment_fixed_size 0
		.amdhsa_private_segment_fixed_size 0
		.amdhsa_kernarg_size 88
		.amdhsa_user_sgpr_count 2
		.amdhsa_user_sgpr_dispatch_ptr 0
		.amdhsa_user_sgpr_queue_ptr 0
		.amdhsa_user_sgpr_kernarg_segment_ptr 1
		.amdhsa_user_sgpr_dispatch_id 0
		.amdhsa_user_sgpr_private_segment_size 0
		.amdhsa_wavefront_size32 1
		.amdhsa_uses_dynamic_stack 0
		.amdhsa_enable_private_segment 0
		.amdhsa_system_sgpr_workgroup_id_x 1
		.amdhsa_system_sgpr_workgroup_id_y 0
		.amdhsa_system_sgpr_workgroup_id_z 0
		.amdhsa_system_sgpr_workgroup_info 0
		.amdhsa_system_vgpr_workitem_id 0
		.amdhsa_next_free_vgpr 127
		.amdhsa_next_free_sgpr 32
		.amdhsa_reserve_vcc 1
		.amdhsa_float_round_mode_32 0
		.amdhsa_float_round_mode_16_64 0
		.amdhsa_float_denorm_mode_32 3
		.amdhsa_float_denorm_mode_16_64 3
		.amdhsa_fp16_overflow 0
		.amdhsa_workgroup_processor_mode 1
		.amdhsa_memory_ordered 1
		.amdhsa_forward_progress 0
		.amdhsa_round_robin_scheduling 0
		.amdhsa_exception_fp_ieee_invalid_op 0
		.amdhsa_exception_fp_denorm_src 0
		.amdhsa_exception_fp_ieee_div_zero 0
		.amdhsa_exception_fp_ieee_overflow 0
		.amdhsa_exception_fp_ieee_underflow 0
		.amdhsa_exception_fp_ieee_inexact 0
		.amdhsa_exception_int_div_zero 0
	.end_amdhsa_kernel
	.text
.Lfunc_end0:
	.size	fft_rtc_back_len1386_factors_2_7_3_11_3_wgs_231_tpt_231_halfLds_half_ip_CI_unitstride_sbrr_C2R_dirReg, .Lfunc_end0-fft_rtc_back_len1386_factors_2_7_3_11_3_wgs_231_tpt_231_halfLds_half_ip_CI_unitstride_sbrr_C2R_dirReg
                                        ; -- End function
	.section	.AMDGPU.csdata,"",@progbits
; Kernel info:
; codeLenInByte = 7832
; NumSgprs: 34
; NumVgprs: 127
; ScratchSize: 0
; MemoryBound: 0
; FloatMode: 240
; IeeeMode: 1
; LDSByteSize: 0 bytes/workgroup (compile time only)
; SGPRBlocks: 4
; VGPRBlocks: 15
; NumSGPRsForWavesPerEU: 34
; NumVGPRsForWavesPerEU: 127
; Occupancy: 10
; WaveLimiterHint : 1
; COMPUTE_PGM_RSRC2:SCRATCH_EN: 0
; COMPUTE_PGM_RSRC2:USER_SGPR: 2
; COMPUTE_PGM_RSRC2:TRAP_HANDLER: 0
; COMPUTE_PGM_RSRC2:TGID_X_EN: 1
; COMPUTE_PGM_RSRC2:TGID_Y_EN: 0
; COMPUTE_PGM_RSRC2:TGID_Z_EN: 0
; COMPUTE_PGM_RSRC2:TIDIG_COMP_CNT: 0
	.text
	.p2alignl 7, 3214868480
	.fill 96, 4, 3214868480
	.type	__hip_cuid_23e6e43ba5736a73,@object ; @__hip_cuid_23e6e43ba5736a73
	.section	.bss,"aw",@nobits
	.globl	__hip_cuid_23e6e43ba5736a73
__hip_cuid_23e6e43ba5736a73:
	.byte	0                               ; 0x0
	.size	__hip_cuid_23e6e43ba5736a73, 1

	.ident	"AMD clang version 19.0.0git (https://github.com/RadeonOpenCompute/llvm-project roc-6.4.0 25133 c7fe45cf4b819c5991fe208aaa96edf142730f1d)"
	.section	".note.GNU-stack","",@progbits
	.addrsig
	.addrsig_sym __hip_cuid_23e6e43ba5736a73
	.amdgpu_metadata
---
amdhsa.kernels:
  - .args:
      - .actual_access:  read_only
        .address_space:  global
        .offset:         0
        .size:           8
        .value_kind:     global_buffer
      - .offset:         8
        .size:           8
        .value_kind:     by_value
      - .actual_access:  read_only
        .address_space:  global
        .offset:         16
        .size:           8
        .value_kind:     global_buffer
      - .actual_access:  read_only
        .address_space:  global
        .offset:         24
        .size:           8
        .value_kind:     global_buffer
      - .offset:         32
        .size:           8
        .value_kind:     by_value
      - .actual_access:  read_only
        .address_space:  global
        .offset:         40
        .size:           8
        .value_kind:     global_buffer
      - .actual_access:  read_only
        .address_space:  global
        .offset:         48
        .size:           8
        .value_kind:     global_buffer
      - .offset:         56
        .size:           4
        .value_kind:     by_value
      - .actual_access:  read_only
        .address_space:  global
        .offset:         64
        .size:           8
        .value_kind:     global_buffer
      - .actual_access:  read_only
        .address_space:  global
        .offset:         72
        .size:           8
        .value_kind:     global_buffer
      - .address_space:  global
        .offset:         80
        .size:           8
        .value_kind:     global_buffer
    .group_segment_fixed_size: 0
    .kernarg_segment_align: 8
    .kernarg_segment_size: 88
    .language:       OpenCL C
    .language_version:
      - 2
      - 0
    .max_flat_workgroup_size: 231
    .name:           fft_rtc_back_len1386_factors_2_7_3_11_3_wgs_231_tpt_231_halfLds_half_ip_CI_unitstride_sbrr_C2R_dirReg
    .private_segment_fixed_size: 0
    .sgpr_count:     34
    .sgpr_spill_count: 0
    .symbol:         fft_rtc_back_len1386_factors_2_7_3_11_3_wgs_231_tpt_231_halfLds_half_ip_CI_unitstride_sbrr_C2R_dirReg.kd
    .uniform_work_group_size: 1
    .uses_dynamic_stack: false
    .vgpr_count:     127
    .vgpr_spill_count: 0
    .wavefront_size: 32
    .workgroup_processor_mode: 1
amdhsa.target:   amdgcn-amd-amdhsa--gfx1201
amdhsa.version:
  - 1
  - 2
...

	.end_amdgpu_metadata
